;; amdgpu-corpus repo=ROCm/rocFFT kind=compiled arch=gfx1030 opt=O3
	.text
	.amdgcn_target "amdgcn-amd-amdhsa--gfx1030"
	.amdhsa_code_object_version 6
	.protected	bluestein_single_fwd_len336_dim1_dp_op_CI_CI ; -- Begin function bluestein_single_fwd_len336_dim1_dp_op_CI_CI
	.globl	bluestein_single_fwd_len336_dim1_dp_op_CI_CI
	.p2align	8
	.type	bluestein_single_fwd_len336_dim1_dp_op_CI_CI,@function
bluestein_single_fwd_len336_dim1_dp_op_CI_CI: ; @bluestein_single_fwd_len336_dim1_dp_op_CI_CI
; %bb.0:
	s_load_dwordx4 s[0:3], s[4:5], 0x28
	v_mul_u32_u24_e32 v1, 0x493, v0
	v_mov_b32_e32 v77, 0
	v_lshrrev_b32_e32 v1, 16, v1
	v_lshl_add_u32 v76, s6, 1, v1
	s_waitcnt lgkmcnt(0)
	v_cmp_gt_u64_e32 vcc_lo, s[0:1], v[76:77]
	s_and_saveexec_b32 s0, vcc_lo
	s_cbranch_execz .LBB0_23
; %bb.1:
	v_mul_lo_u16 v2, v1, 56
	s_clause 0x1
	s_load_dwordx2 s[14:15], s[4:5], 0x0
	s_load_dwordx2 s[12:13], s[4:5], 0x38
	v_and_b32_e32 v1, 1, v1
	v_sub_nc_u16 v0, v0, v2
	v_cmp_eq_u32_e32 vcc_lo, 1, v1
	v_and_b32_e32 v85, 0xffff, v0
	v_cndmask_b32_e64 v92, 0, 0x150, vcc_lo
	v_cmp_gt_u16_e32 vcc_lo, 42, v0
	v_lshlrev_b32_e32 v86, 4, v85
	v_lshlrev_b32_e32 v87, 4, v92
	s_and_saveexec_b32 s1, vcc_lo
	s_cbranch_execz .LBB0_3
; %bb.2:
	s_load_dwordx2 s[6:7], s[4:5], 0x18
	s_waitcnt lgkmcnt(0)
	v_add_co_u32 v20, s0, s14, v86
	v_add_co_ci_u32_e64 v21, null, s15, 0, s0
	s_load_dwordx4 s[8:11], s[6:7], 0x0
	s_waitcnt lgkmcnt(0)
	v_mad_u64_u32 v[12:13], null, s10, v76, 0
	v_mad_u64_u32 v[16:17], null, s8, v85, 0
	s_mul_i32 s6, s9, 0x2a0
	s_mul_hi_u32 s7, s8, 0x2a0
	s_add_i32 s7, s7, s6
	v_mov_b32_e32 v0, v13
	v_mad_u64_u32 v[4:5], null, s11, v76, v[0:1]
	v_mov_b32_e32 v5, v17
	global_load_dwordx4 v[0:3], v86, s[14:15]
	v_mad_u64_u32 v[14:15], null, s9, v85, v[5:6]
	v_mov_b32_e32 v13, v4
	s_clause 0x1
	global_load_dwordx4 v[4:7], v86, s[14:15] offset:672
	global_load_dwordx4 v[8:11], v86, s[14:15] offset:1344
	v_lshlrev_b64 v[18:19], 4, v[12:13]
	v_mov_b32_e32 v17, v14
	global_load_dwordx4 v[12:15], v86, s[14:15] offset:2016
	v_lshlrev_b64 v[16:17], 4, v[16:17]
	v_add_co_u32 v18, s0, s2, v18
	v_add_co_ci_u32_e64 v19, s0, s3, v19, s0
	s_mul_i32 s2, s8, 0x2a0
	v_add_co_u32 v24, s0, v18, v16
	v_add_co_ci_u32_e64 v25, s0, v19, v17, s0
	v_add_co_u32 v28, s0, v24, s2
	v_add_co_ci_u32_e64 v29, s0, s7, v25, s0
	;; [unrolled: 2-line block ×6, first 2 shown]
	s_clause 0x1
	global_load_dwordx4 v[16:19], v[48:49], off offset:640
	global_load_dwordx4 v[20:23], v[48:49], off offset:1312
	v_add_co_u32 v40, s0, v36, s2
	v_add_co_ci_u32_e64 v41, s0, s7, v37, s0
	s_clause 0x1
	global_load_dwordx4 v[24:27], v[24:25], off
	global_load_dwordx4 v[28:31], v[28:29], off
	v_add_co_u32 v44, s0, v40, s2
	v_add_co_ci_u32_e64 v45, s0, s7, v41, s0
	s_clause 0x1
	global_load_dwordx4 v[32:35], v[32:33], off
	global_load_dwordx4 v[36:39], v[36:37], off
	v_add_co_u32 v52, s0, v44, s2
	v_add_co_ci_u32_e64 v53, s0, s7, v45, s0
	global_load_dwordx4 v[40:43], v[40:41], off
	v_add_co_u32 v60, s0, v52, s2
	v_add_co_ci_u32_e64 v61, s0, s7, v53, s0
	global_load_dwordx4 v[44:47], v[44:45], off
	global_load_dwordx4 v[48:51], v[48:49], off offset:1984
	global_load_dwordx4 v[52:55], v[52:53], off
	global_load_dwordx4 v[56:59], v[56:57], off offset:608
	global_load_dwordx4 v[60:63], v[60:61], off
	s_waitcnt vmcnt(9)
	v_mul_f64 v[64:65], v[26:27], v[2:3]
	v_mul_f64 v[2:3], v[24:25], v[2:3]
	s_waitcnt vmcnt(8)
	v_mul_f64 v[66:67], v[30:31], v[6:7]
	v_mul_f64 v[6:7], v[28:29], v[6:7]
	;; [unrolled: 3-line block ×8, first 2 shown]
	v_fma_f64 v[22:23], v[24:25], v[0:1], v[64:65]
	v_fma_f64 v[24:25], v[26:27], v[0:1], -v[2:3]
	v_fma_f64 v[0:1], v[28:29], v[4:5], v[66:67]
	v_fma_f64 v[2:3], v[30:31], v[4:5], -v[6:7]
	;; [unrolled: 2-line block ×8, first 2 shown]
	v_lshl_add_u32 v20, v85, 4, v87
	v_add_nc_u32_e32 v21, v87, v86
	ds_write_b128 v20, v[22:25]
	ds_write_b128 v21, v[0:3] offset:672
	ds_write_b128 v21, v[4:7] offset:1344
	;; [unrolled: 1-line block ×7, first 2 shown]
.LBB0_3:
	s_or_b32 exec_lo, exec_lo, s1
	s_waitcnt lgkmcnt(0)
	s_barrier
	buffer_gl0_inv
                                        ; implicit-def: $vgpr0_vgpr1
                                        ; implicit-def: $vgpr8_vgpr9
                                        ; implicit-def: $vgpr16_vgpr17
                                        ; implicit-def: $vgpr28_vgpr29
                                        ; implicit-def: $vgpr24_vgpr25
                                        ; implicit-def: $vgpr20_vgpr21
                                        ; implicit-def: $vgpr12_vgpr13
                                        ; implicit-def: $vgpr4_vgpr5
	s_and_saveexec_b32 s0, vcc_lo
	s_cbranch_execz .LBB0_5
; %bb.4:
	v_lshl_add_u32 v28, v92, 4, v86
	ds_read_b128 v[0:3], v28
	ds_read_b128 v[4:7], v28 offset:672
	ds_read_b128 v[8:11], v28 offset:1344
	ds_read_b128 v[12:15], v28 offset:2016
	ds_read_b128 v[20:23], v28 offset:2688
	ds_read_b128 v[16:19], v28 offset:3360
	ds_read_b128 v[24:27], v28 offset:4032
	ds_read_b128 v[28:31], v28 offset:4704
.LBB0_5:
	s_or_b32 exec_lo, exec_lo, s0
	s_waitcnt lgkmcnt(3)
	v_add_f64 v[20:21], v[0:1], -v[20:21]
	v_add_f64 v[22:23], v[2:3], -v[22:23]
	s_waitcnt lgkmcnt(1)
	v_add_f64 v[24:25], v[8:9], -v[24:25]
	v_add_f64 v[26:27], v[10:11], -v[26:27]
	;; [unrolled: 1-line block ×4, first 2 shown]
	s_waitcnt lgkmcnt(0)
	v_add_f64 v[28:29], v[12:13], -v[28:29]
	v_add_f64 v[30:31], v[14:15], -v[30:31]
	s_mov_b32 s0, 0x667f3bcd
	s_mov_b32 s1, 0xbfe6a09e
	;; [unrolled: 1-line block ×4, first 2 shown]
	v_lshlrev_b16 v91, 3, v85
	s_barrier
	buffer_gl0_inv
	v_fma_f64 v[0:1], v[0:1], 2.0, -v[20:21]
	v_fma_f64 v[2:3], v[2:3], 2.0, -v[22:23]
	;; [unrolled: 1-line block ×6, first 2 shown]
	v_add_f64 v[26:27], v[20:21], -v[26:27]
	v_add_f64 v[38:39], v[24:25], v[22:23]
	v_fma_f64 v[12:13], v[12:13], 2.0, -v[28:29]
	v_fma_f64 v[14:15], v[14:15], 2.0, -v[30:31]
	v_add_f64 v[24:25], v[16:17], -v[30:31]
	v_add_f64 v[28:29], v[28:29], v[18:19]
	v_add_f64 v[8:9], v[0:1], -v[8:9]
	v_add_f64 v[10:11], v[2:3], -v[10:11]
	v_fma_f64 v[20:21], v[20:21], 2.0, -v[26:27]
	v_fma_f64 v[22:23], v[22:23], 2.0, -v[38:39]
	v_add_f64 v[12:13], v[4:5], -v[12:13]
	v_add_f64 v[14:15], v[6:7], -v[14:15]
	v_fma_f64 v[16:17], v[16:17], 2.0, -v[24:25]
	v_fma_f64 v[18:19], v[18:19], 2.0, -v[28:29]
	v_fma_f64 v[30:31], v[24:25], s[2:3], v[26:27]
	v_fma_f64 v[36:37], v[28:29], s[2:3], v[38:39]
	v_fma_f64 v[0:1], v[0:1], 2.0, -v[8:9]
	v_fma_f64 v[2:3], v[2:3], 2.0, -v[10:11]
	;; [unrolled: 1-line block ×4, first 2 shown]
	v_fma_f64 v[32:33], v[16:17], s[0:1], v[20:21]
	v_fma_f64 v[34:35], v[18:19], s[0:1], v[22:23]
	v_add_f64 v[52:53], v[8:9], -v[14:15]
	v_add_f64 v[54:55], v[10:11], v[12:13]
	v_fma_f64 v[44:45], v[28:29], s[0:1], v[30:31]
	v_fma_f64 v[46:47], v[24:25], s[2:3], v[36:37]
	v_add_f64 v[40:41], v[0:1], -v[4:5]
	v_add_f64 v[42:43], v[2:3], -v[6:7]
	v_fma_f64 v[48:49], v[18:19], s[0:1], v[32:33]
	v_fma_f64 v[50:51], v[16:17], s[2:3], v[34:35]
	v_fma_f64 v[32:33], v[8:9], 2.0, -v[52:53]
	v_fma_f64 v[34:35], v[10:11], 2.0, -v[54:55]
	v_fma_f64 v[36:37], v[26:27], 2.0, -v[44:45]
	v_fma_f64 v[38:39], v[38:39], 2.0, -v[46:47]
	s_load_dwordx2 s[2:3], s[4:5], 0x8
	v_fma_f64 v[24:25], v[0:1], 2.0, -v[40:41]
	v_fma_f64 v[26:27], v[2:3], 2.0, -v[42:43]
	;; [unrolled: 1-line block ×4, first 2 shown]
	s_and_saveexec_b32 s0, vcc_lo
	s_cbranch_execz .LBB0_7
; %bb.6:
	v_and_b32_e32 v0, 0xffff, v91
	v_add_lshl_u32 v0, v92, v0, 4
	ds_write_b128 v0, v[24:27]
	ds_write_b128 v0, v[28:31] offset:16
	ds_write_b128 v0, v[32:35] offset:32
	;; [unrolled: 1-line block ×7, first 2 shown]
.LBB0_7:
	s_or_b32 exec_lo, exec_lo, s0
	s_load_dwordx2 s[4:5], s[4:5], 0x20
	v_cmp_gt_u16_e64 s0, 48, v85
	v_add_lshl_u32 v88, v92, v85, 4
	s_waitcnt lgkmcnt(0)
	s_barrier
	buffer_gl0_inv
	s_and_saveexec_b32 s1, s0
	s_cbranch_execz .LBB0_9
; %bb.8:
	ds_read_b128 v[24:27], v88
	ds_read_b128 v[28:31], v88 offset:768
	ds_read_b128 v[32:35], v88 offset:1536
	;; [unrolled: 1-line block ×6, first 2 shown]
.LBB0_9:
	s_or_b32 exec_lo, exec_lo, s1
	v_and_b32_e32 v89, 7, v85
	s_mov_b32 s6, 0x37e14327
	s_mov_b32 s8, 0xb247c609
	;; [unrolled: 1-line block ×4, first 2 shown]
	v_mul_u32_u24_e32 v0, 6, v89
	s_mov_b32 s10, 0xaaaaaaaa
	s_mov_b32 s11, 0xbff2aaaa
	v_lshrrev_b32_e32 v90, 3, v85
	v_lshlrev_b32_e32 v12, 4, v0
	s_clause 0x5
	global_load_dwordx4 v[4:7], v12, s[2:3]
	global_load_dwordx4 v[0:3], v12, s[2:3] offset:16
	global_load_dwordx4 v[8:11], v12, s[2:3] offset:80
	;; [unrolled: 1-line block ×5, first 2 shown]
	s_waitcnt vmcnt(0) lgkmcnt(0)
	s_barrier
	buffer_gl0_inv
	v_mul_f64 v[56:57], v[30:31], v[6:7]
	v_mul_f64 v[58:59], v[28:29], v[6:7]
	;; [unrolled: 1-line block ×12, first 2 shown]
	v_fma_f64 v[56:57], v[28:29], v[4:5], -v[56:57]
	v_fma_f64 v[58:59], v[30:31], v[4:5], v[58:59]
	v_fma_f64 v[60:61], v[32:33], v[0:1], -v[60:61]
	v_fma_f64 v[32:33], v[52:53], v[8:9], -v[62:63]
	;; [unrolled: 1-line block ×3, first 2 shown]
	v_fma_f64 v[52:53], v[34:35], v[0:1], v[66:67]
	v_fma_f64 v[54:55], v[54:55], v[8:9], v[68:69]
	;; [unrolled: 1-line block ×3, first 2 shown]
	v_fma_f64 v[62:63], v[36:37], v[16:17], -v[72:73]
	v_fma_f64 v[38:39], v[38:39], v[16:17], v[74:75]
	v_fma_f64 v[64:65], v[40:41], v[12:13], -v[77:78]
	v_fma_f64 v[42:43], v[42:43], v[12:13], v[79:80]
	v_add_f64 v[28:29], v[56:57], v[32:33]
	v_add_f64 v[30:31], v[60:61], v[48:49]
	v_add_f64 v[40:41], v[56:57], -v[32:33]
	v_add_f64 v[34:35], v[58:59], v[54:55]
	v_add_f64 v[36:37], v[52:53], v[50:51]
	v_add_f64 v[32:33], v[58:59], -v[54:55]
	v_add_f64 v[54:55], v[62:63], v[64:65]
	v_add_f64 v[56:57], v[64:65], -v[62:63]
	v_add_f64 v[58:59], v[42:43], -v[38:39]
	v_add_f64 v[62:63], v[38:39], v[42:43]
	v_add_f64 v[42:43], v[60:61], -v[48:49]
	v_add_f64 v[38:39], v[52:53], -v[50:51]
	v_add_f64 v[64:65], v[30:31], v[28:29]
	v_add_f64 v[66:67], v[36:37], v[34:35]
	v_add_f64 v[48:49], v[28:29], -v[54:55]
	v_add_f64 v[50:51], v[40:41], -v[56:57]
	;; [unrolled: 1-line block ×5, first 2 shown]
	v_add_f64 v[83:84], v[58:59], v[38:39]
	v_add_f64 v[68:69], v[58:59], -v[38:39]
	v_add_f64 v[74:75], v[62:63], -v[36:37]
	v_add_f64 v[72:73], v[54:55], v[64:65]
	v_add_f64 v[64:65], v[54:55], -v[30:31]
	v_add_f64 v[54:55], v[56:57], v[42:43]
	v_add_f64 v[77:78], v[62:63], v[66:67]
	v_mul_f64 v[58:59], v[48:49], s[6:7]
	v_mul_f64 v[66:67], v[50:51], s[8:9]
	;; [unrolled: 1-line block ×4, first 2 shown]
	s_mov_b32 s6, 0x36b3c0b5
	s_mov_b32 s8, 0xe976ee23
	;; [unrolled: 1-line block ×4, first 2 shown]
	v_add_f64 v[83:84], v[83:84], v[32:33]
	v_add_f64 v[24:25], v[24:25], v[72:73]
	;; [unrolled: 1-line block ×4, first 2 shown]
	v_fma_f64 v[48:49], v[64:65], s[6:7], v[58:59]
	v_fma_f64 v[50:51], v[70:71], s[8:9], v[66:67]
	;; [unrolled: 1-line block ×6, first 2 shown]
	s_mov_b32 s10, 0x37c3f68c
	s_mov_b32 s11, 0x3fdc38aa
	v_fma_f64 v[56:57], v[81:82], s[10:11], v[50:51]
	v_fma_f64 v[52:53], v[83:84], s[10:11], v[52:53]
	v_add_f64 v[54:55], v[48:49], v[72:73]
	v_add_f64 v[60:61], v[60:61], v[77:78]
	v_add_f64 v[48:49], v[54:55], -v[52:53]
	v_add_f64 v[50:51], v[56:57], v[60:61]
	s_and_saveexec_b32 s1, s0
	s_cbranch_execz .LBB0_11
; %bb.10:
	v_add_f64 v[40:41], v[42:43], -v[40:41]
	v_add_f64 v[34:35], v[36:37], -v[34:35]
	;; [unrolled: 1-line block ×4, first 2 shown]
	v_mul_f64 v[32:33], v[74:75], s[6:7]
	v_mul_f64 v[36:37], v[70:71], s[8:9]
	;; [unrolled: 1-line block ×4, first 2 shown]
	s_mov_b32 s7, 0xbfebfeb5
	s_mov_b32 s6, 0x429ad128
	;; [unrolled: 1-line block ×4, first 2 shown]
	v_mul_f64 v[64:65], v[81:82], s[10:11]
	v_mul_f64 v[68:69], v[83:84], s[10:11]
	v_fma_f64 v[66:67], v[40:41], s[6:7], -v[66:67]
	v_fma_f64 v[70:71], v[34:35], s[8:9], -v[79:80]
	;; [unrolled: 1-line block ×4, first 2 shown]
	s_mov_b32 s9, 0x3fe77f67
	s_mov_b32 s7, 0x3febfeb5
	v_fma_f64 v[32:33], v[34:35], s[8:9], -v[32:33]
	v_fma_f64 v[34:35], v[40:41], s[6:7], -v[36:37]
	;; [unrolled: 1-line block ×4, first 2 shown]
	v_add_f64 v[36:37], v[64:65], v[66:67]
	v_add_f64 v[38:39], v[70:71], v[77:78]
	;; [unrolled: 1-line block ×8, first 2 shown]
	v_add_f64 v[30:31], v[60:61], -v[56:57]
	v_add_f64 v[28:29], v[52:53], v[54:55]
	v_mul_u32_u24_e32 v56, 56, v90
	v_or_b32_e32 v56, v56, v89
	v_add_lshl_u32 v56, v92, v56, 4
	v_add_f64 v[34:35], v[36:37], v[38:39]
	v_add_f64 v[38:39], v[38:39], -v[36:37]
	v_add_f64 v[36:37], v[42:43], v[40:41]
	v_add_f64 v[32:33], v[40:41], -v[42:43]
	;; [unrolled: 2-line block ×3, first 2 shown]
	v_add_f64 v[52:53], v[64:65], -v[66:67]
	v_add_f64 v[40:41], v[66:67], v[64:65]
	ds_write_b128 v56, v[24:27]
	ds_write_b128 v56, v[28:31] offset:128
	ds_write_b128 v56, v[36:39] offset:256
	;; [unrolled: 1-line block ×6, first 2 shown]
.LBB0_11:
	s_or_b32 exec_lo, exec_lo, s1
	v_mad_u64_u32 v[32:33], null, 0x50, v85, s[2:3]
	s_load_dwordx4 s[4:7], s[4:5], 0x0
	s_waitcnt lgkmcnt(0)
	s_barrier
	buffer_gl0_inv
	s_mov_b32 s2, 0xe8584caa
	s_mov_b32 s3, 0x3febb67a
	s_clause 0x4
	global_load_dwordx4 v[24:27], v[32:33], off offset:800
	global_load_dwordx4 v[40:43], v[32:33], off offset:832
	;; [unrolled: 1-line block ×5, first 2 shown]
	ds_read_b128 v[52:55], v88 offset:2688
	ds_read_b128 v[56:59], v88 offset:4480
	ds_read_b128 v[60:63], v88 offset:896
	ds_read_b128 v[64:67], v88 offset:1792
	ds_read_b128 v[68:71], v88 offset:3584
	s_mov_b32 s9, 0xbfebb67a
	s_mov_b32 s8, s2
	s_waitcnt vmcnt(4) lgkmcnt(4)
	v_mul_f64 v[72:73], v[54:55], v[26:27]
	v_mul_f64 v[74:75], v[52:53], v[26:27]
	s_waitcnt vmcnt(3) lgkmcnt(3)
	v_mul_f64 v[77:78], v[56:57], v[42:43]
	v_mul_f64 v[79:80], v[58:59], v[42:43]
	;; [unrolled: 3-line block ×3, first 2 shown]
	v_fma_f64 v[72:73], v[52:53], v[24:25], -v[72:73]
	v_fma_f64 v[74:75], v[54:55], v[24:25], v[74:75]
	v_fma_f64 v[58:59], v[58:59], v[40:41], v[77:78]
	v_fma_f64 v[56:57], v[56:57], v[40:41], -v[79:80]
	s_waitcnt vmcnt(1) lgkmcnt(1)
	v_mul_f64 v[52:53], v[66:67], v[38:39]
	v_mul_f64 v[54:55], v[64:65], v[38:39]
	s_waitcnt vmcnt(0) lgkmcnt(0)
	v_mul_f64 v[77:78], v[70:71], v[34:35]
	v_mul_f64 v[79:80], v[68:69], v[34:35]
	v_fma_f64 v[60:61], v[60:61], v[28:29], -v[81:82]
	v_fma_f64 v[62:63], v[62:63], v[28:29], v[83:84]
	v_add_f64 v[81:82], v[74:75], v[58:59]
	v_add_f64 v[83:84], v[72:73], v[56:57]
	v_fma_f64 v[64:65], v[64:65], v[36:37], -v[52:53]
	v_fma_f64 v[66:67], v[66:67], v[36:37], v[54:55]
	v_fma_f64 v[68:69], v[68:69], v[32:33], -v[77:78]
	v_fma_f64 v[70:71], v[70:71], v[32:33], v[79:80]
	v_add_f64 v[77:78], v[74:75], -v[58:59]
	v_add_f64 v[79:80], v[72:73], -v[56:57]
	ds_read_b128 v[52:55], v88
	v_fma_f64 v[81:82], v[81:82], -0.5, v[62:63]
	v_fma_f64 v[83:84], v[83:84], -0.5, v[60:61]
	v_add_f64 v[60:61], v[60:61], v[72:73]
	v_add_f64 v[62:63], v[62:63], v[74:75]
	;; [unrolled: 1-line block ×4, first 2 shown]
	v_fma_f64 v[96:97], v[79:80], s[8:9], v[81:82]
	v_fma_f64 v[98:99], v[77:78], s[8:9], v[83:84]
	;; [unrolled: 1-line block ×4, first 2 shown]
	s_waitcnt lgkmcnt(0)
	v_add_f64 v[81:82], v[52:53], v[64:65]
	v_add_f64 v[83:84], v[66:67], -v[70:71]
	v_add_f64 v[66:67], v[54:55], v[66:67]
	v_fma_f64 v[52:53], v[92:93], -0.5, v[52:53]
	v_add_f64 v[64:65], v[64:65], -v[68:69]
	v_fma_f64 v[54:55], v[94:95], -0.5, v[54:55]
	v_add_f64 v[56:57], v[60:61], v[56:57]
	v_add_f64 v[58:59], v[62:63], v[58:59]
	v_mul_f64 v[72:73], v[96:97], s[2:3]
	v_mul_f64 v[74:75], v[98:99], -0.5
	v_mul_f64 v[92:93], v[77:78], s[8:9]
	v_mul_f64 v[94:95], v[79:80], -0.5
	v_add_f64 v[68:69], v[81:82], v[68:69]
	v_add_f64 v[66:67], v[66:67], v[70:71]
	v_fma_f64 v[70:71], v[83:84], s[2:3], v[52:53]
	v_fma_f64 v[81:82], v[83:84], s[8:9], v[52:53]
	v_fma_f64 v[83:84], v[64:65], s[8:9], v[54:55]
	v_fma_f64 v[100:101], v[64:65], s[2:3], v[54:55]
	v_fma_f64 v[72:73], v[77:78], 0.5, v[72:73]
	v_fma_f64 v[74:75], v[79:80], s[2:3], v[74:75]
	v_fma_f64 v[77:78], v[96:97], 0.5, v[92:93]
	v_fma_f64 v[79:80], v[98:99], s[8:9], v[94:95]
	v_add_f64 v[52:53], v[68:69], v[56:57]
	v_add_f64 v[60:61], v[68:69], -v[56:57]
	v_add_f64 v[54:55], v[66:67], v[58:59]
	v_add_f64 v[62:63], v[66:67], -v[58:59]
	v_add_f64 v[56:57], v[70:71], v[72:73]
	v_add_f64 v[64:65], v[81:82], v[74:75]
	;; [unrolled: 1-line block ×4, first 2 shown]
	v_add_f64 v[68:69], v[70:71], -v[72:73]
	v_add_f64 v[72:73], v[81:82], -v[74:75]
	;; [unrolled: 1-line block ×4, first 2 shown]
	v_lshl_add_u32 v77, v85, 4, v87
	ds_write_b128 v77, v[52:55]
	ds_write_b128 v77, v[60:63] offset:2688
	ds_write_b128 v77, v[56:59] offset:896
	;; [unrolled: 1-line block ×5, first 2 shown]
	s_waitcnt lgkmcnt(0)
	s_barrier
	buffer_gl0_inv
	s_and_saveexec_b32 s2, vcc_lo
	s_cbranch_execz .LBB0_13
; %bb.12:
	v_add_co_u32 v84, s1, s14, v86
	v_add_co_ci_u32_e64 v100, null, s15, 0, s1
	v_add_co_u32 v78, s1, 0x1000, v84
	v_add_co_ci_u32_e64 v79, s1, 0, v100, s1
	v_add_co_u32 v82, s1, 0x1500, v84
	v_add_co_ci_u32_e64 v83, s1, 0, v100, s1
	;; [unrolled: 2-line block ×3, first 2 shown]
	s_clause 0x2
	global_load_dwordx4 v[78:81], v[78:79], off offset:1280
	global_load_dwordx4 v[92:95], v[82:83], off offset:672
	;; [unrolled: 1-line block ×3, first 2 shown]
	v_add_co_u32 v116, s1, 0x2000, v84
	v_add_co_ci_u32_e64 v117, s1, 0, v100, s1
	s_clause 0x4
	global_load_dwordx4 v[100:103], v[82:83], off offset:2016
	global_load_dwordx4 v[104:107], v[104:105], off offset:1920
	;; [unrolled: 1-line block ×5, first 2 shown]
	ds_read_b128 v[120:123], v77
	ds_read_b128 v[124:127], v77 offset:672
	ds_read_b128 v[128:131], v77 offset:1344
	;; [unrolled: 1-line block ×7, first 2 shown]
	s_waitcnt vmcnt(7) lgkmcnt(7)
	v_mul_f64 v[82:83], v[122:123], v[80:81]
	v_mul_f64 v[152:153], v[120:121], v[80:81]
	s_waitcnt vmcnt(6) lgkmcnt(6)
	v_mul_f64 v[154:155], v[126:127], v[94:95]
	v_mul_f64 v[94:95], v[124:125], v[94:95]
	;; [unrolled: 3-line block ×8, first 2 shown]
	v_fma_f64 v[80:81], v[120:121], v[78:79], -v[82:83]
	v_fma_f64 v[82:83], v[122:123], v[78:79], v[152:153]
	v_fma_f64 v[118:119], v[124:125], v[92:93], -v[154:155]
	v_fma_f64 v[120:121], v[126:127], v[92:93], v[94:95]
	;; [unrolled: 2-line block ×8, first 2 shown]
	ds_write_b128 v77, v[80:83]
	ds_write_b128 v77, v[118:121] offset:672
	ds_write_b128 v77, v[92:95] offset:1344
	;; [unrolled: 1-line block ×7, first 2 shown]
.LBB0_13:
	s_or_b32 exec_lo, exec_lo, s2
	s_waitcnt lgkmcnt(0)
	s_barrier
	buffer_gl0_inv
	s_and_saveexec_b32 s1, vcc_lo
	s_cbranch_execz .LBB0_15
; %bb.14:
	ds_read_b128 v[52:55], v77
	ds_read_b128 v[56:59], v77 offset:672
	ds_read_b128 v[64:67], v77 offset:1344
	;; [unrolled: 1-line block ×7, first 2 shown]
.LBB0_15:
	s_or_b32 exec_lo, exec_lo, s1
	s_waitcnt lgkmcnt(3)
	v_add_f64 v[68:69], v[52:53], -v[68:69]
	v_add_f64 v[70:71], v[54:55], -v[70:71]
	s_waitcnt lgkmcnt(1)
	v_add_f64 v[48:49], v[64:65], -v[48:49]
	v_add_f64 v[50:51], v[66:67], -v[50:51]
	;; [unrolled: 1-line block ×4, first 2 shown]
	s_waitcnt lgkmcnt(0)
	v_add_f64 v[44:45], v[60:61], -v[44:45]
	v_add_f64 v[46:47], v[62:63], -v[46:47]
	s_mov_b32 s2, 0x667f3bcd
	s_mov_b32 s3, 0xbfe6a09e
	;; [unrolled: 1-line block ×4, first 2 shown]
	s_barrier
	buffer_gl0_inv
	v_fma_f64 v[52:53], v[52:53], 2.0, -v[68:69]
	v_fma_f64 v[54:55], v[54:55], 2.0, -v[70:71]
	;; [unrolled: 1-line block ×6, first 2 shown]
	v_add_f64 v[50:51], v[50:51], v[68:69]
	v_add_f64 v[78:79], v[70:71], -v[48:49]
	v_fma_f64 v[48:49], v[60:61], 2.0, -v[44:45]
	v_fma_f64 v[60:61], v[62:63], 2.0, -v[46:47]
	v_add_f64 v[46:47], v[46:47], v[72:73]
	v_add_f64 v[44:45], v[74:75], -v[44:45]
	v_add_f64 v[80:81], v[52:53], -v[64:65]
	;; [unrolled: 1-line block ×3, first 2 shown]
	v_fma_f64 v[92:93], v[68:69], 2.0, -v[50:51]
	v_fma_f64 v[94:95], v[70:71], 2.0, -v[78:79]
	v_add_f64 v[48:49], v[56:57], -v[48:49]
	v_add_f64 v[60:61], v[58:59], -v[60:61]
	v_fma_f64 v[66:67], v[72:73], 2.0, -v[46:47]
	v_fma_f64 v[64:65], v[74:75], 2.0, -v[44:45]
	v_fma_f64 v[62:63], v[46:47], s[8:9], v[50:51]
	v_fma_f64 v[74:75], v[44:45], s[8:9], v[78:79]
	v_fma_f64 v[96:97], v[52:53], 2.0, -v[80:81]
	v_fma_f64 v[98:99], v[54:55], 2.0, -v[82:83]
	;; [unrolled: 1-line block ×4, first 2 shown]
	v_fma_f64 v[56:57], v[66:67], s[2:3], v[92:93]
	v_fma_f64 v[58:59], v[64:65], s[2:3], v[94:95]
	v_add_f64 v[68:69], v[80:81], v[60:61]
	v_add_f64 v[70:71], v[82:83], -v[48:49]
	v_fma_f64 v[72:73], v[44:45], s[8:9], v[62:63]
	v_fma_f64 v[74:75], v[46:47], s[2:3], v[74:75]
	v_add_f64 v[60:61], v[96:97], -v[52:53]
	v_add_f64 v[62:63], v[98:99], -v[54:55]
	v_fma_f64 v[64:65], v[64:65], s[8:9], v[56:57]
	v_fma_f64 v[66:67], v[66:67], s[2:3], v[58:59]
	v_fma_f64 v[52:53], v[80:81], 2.0, -v[68:69]
	v_fma_f64 v[54:55], v[82:83], 2.0, -v[70:71]
	;; [unrolled: 1-line block ×8, first 2 shown]
	s_and_saveexec_b32 s1, vcc_lo
	s_cbranch_execz .LBB0_17
; %bb.16:
	v_and_b32_e32 v78, 0xffff, v91
	v_lshl_add_u32 v78, v78, 4, v87
	ds_write_b128 v78, v[44:47]
	ds_write_b128 v78, v[48:51] offset:16
	ds_write_b128 v78, v[52:55] offset:32
	;; [unrolled: 1-line block ×7, first 2 shown]
.LBB0_17:
	s_or_b32 exec_lo, exec_lo, s1
	s_waitcnt lgkmcnt(0)
	s_barrier
	buffer_gl0_inv
	s_and_saveexec_b32 s1, s0
	s_cbranch_execz .LBB0_19
; %bb.18:
	ds_read_b128 v[44:47], v88
	ds_read_b128 v[48:51], v88 offset:768
	ds_read_b128 v[52:55], v88 offset:1536
	;; [unrolled: 1-line block ×6, first 2 shown]
.LBB0_19:
	s_or_b32 exec_lo, exec_lo, s1
	s_waitcnt lgkmcnt(0)
	s_barrier
	buffer_gl0_inv
	s_and_saveexec_b32 s1, s0
	s_cbranch_execz .LBB0_21
; %bb.20:
	v_mul_f64 v[72:73], v[10:11], v[68:69]
	v_mul_f64 v[74:75], v[6:7], v[48:49]
	;; [unrolled: 1-line block ×12, first 2 shown]
	s_mov_b32 s2, 0xe976ee23
	s_mov_b32 s3, 0x3fe11646
	;; [unrolled: 1-line block ×10, first 2 shown]
	v_fma_f64 v[70:71], v[8:9], v[70:71], -v[72:73]
	v_fma_f64 v[50:51], v[4:5], v[50:51], -v[74:75]
	v_fma_f64 v[66:67], v[20:21], v[66:67], -v[78:79]
	v_fma_f64 v[54:55], v[0:1], v[54:55], -v[80:81]
	v_fma_f64 v[4:5], v[4:5], v[48:49], v[6:7]
	v_fma_f64 v[6:7], v[8:9], v[68:69], v[10:11]
	;; [unrolled: 1-line block ×6, first 2 shown]
	v_fma_f64 v[16:17], v[16:17], v[58:59], -v[18:19]
	v_fma_f64 v[12:13], v[12:13], v[62:63], -v[14:15]
	v_add_f64 v[14:15], v[70:71], v[50:51]
	v_add_f64 v[18:19], v[54:55], v[66:67]
	;; [unrolled: 1-line block ×3, first 2 shown]
	v_add_f64 v[4:5], v[4:5], -v[6:7]
	v_add_f64 v[22:23], v[0:1], v[2:3]
	v_add_f64 v[0:1], v[0:1], -v[2:3]
	v_add_f64 v[48:49], v[8:9], -v[10:11]
	v_add_f64 v[8:9], v[8:9], v[10:11]
	v_add_f64 v[2:3], v[12:13], v[16:17]
	v_add_f64 v[12:13], v[12:13], -v[16:17]
	v_add_f64 v[16:17], v[54:55], -v[66:67]
	;; [unrolled: 1-line block ×3, first 2 shown]
	v_add_f64 v[6:7], v[18:19], v[14:15]
	v_add_f64 v[50:51], v[22:23], v[20:21]
	v_add_f64 v[60:61], v[0:1], -v[4:5]
	v_add_f64 v[52:53], v[48:49], -v[0:1]
	;; [unrolled: 1-line block ×10, first 2 shown]
	v_add_f64 v[48:49], v[0:1], v[48:49]
	v_add_f64 v[68:69], v[10:11], -v[12:13]
	v_add_f64 v[12:13], v[16:17], v[12:13]
	v_add_f64 v[6:7], v[2:3], v[6:7]
	;; [unrolled: 1-line block ×3, first 2 shown]
	v_add_f64 v[8:9], v[8:9], -v[22:23]
	v_mul_f64 v[52:53], v[52:53], s[2:3]
	v_mul_f64 v[20:21], v[58:59], s[8:9]
	;; [unrolled: 1-line block ×5, first 2 shown]
	s_mov_b32 s2, 0x36b3c0b5
	s_mov_b32 s3, 0x3fac98ee
	;; [unrolled: 1-line block ×3, first 2 shown]
	v_mul_f64 v[16:17], v[62:63], s[2:3]
	s_mov_b32 s8, 0xb247c609
	v_add_f64 v[4:5], v[48:49], v[4:5]
	v_add_f64 v[10:11], v[12:13], v[10:11]
	;; [unrolled: 1-line block ×3, first 2 shown]
	v_mul_f64 v[46:47], v[64:65], s[10:11]
	v_add_f64 v[0:1], v[44:45], v[50:51]
	v_mul_f64 v[44:45], v[8:9], s[2:3]
	v_fma_f64 v[48:49], v[66:67], s[8:9], v[52:53]
	v_fma_f64 v[70:71], v[18:19], s[18:19], -v[20:21]
	v_fma_f64 v[58:59], v[62:63], s[2:3], v[54:55]
	v_fma_f64 v[54:55], v[14:15], s[18:19], -v[54:55]
	s_mov_b32 s19, 0x3fe77f67
	v_fma_f64 v[62:63], v[68:69], s[8:9], v[56:57]
	s_mov_b32 s9, 0x3fd5d0dc
	v_fma_f64 v[52:53], v[60:61], s[10:11], -v[52:53]
	v_fma_f64 v[12:13], v[14:15], s[18:19], -v[16:17]
	v_fma_f64 v[8:9], v[8:9], s[2:3], v[20:21]
	v_fma_f64 v[22:23], v[66:67], s[8:9], -v[22:23]
	v_fma_f64 v[14:15], v[64:65], s[10:11], -v[56:57]
	s_mov_b32 s2, 0x37c3f68c
	s_mov_b32 s3, 0xbfdc38aa
	v_fma_f64 v[6:7], v[6:7], s[16:17], v[2:3]
	v_fma_f64 v[16:17], v[68:69], s[8:9], -v[46:47]
	v_fma_f64 v[20:21], v[50:51], s[16:17], v[0:1]
	v_fma_f64 v[18:19], v[18:19], s[18:19], -v[44:45]
	v_fma_f64 v[44:45], v[4:5], s[2:3], v[48:49]
	v_fma_f64 v[50:51], v[10:11], s[2:3], v[62:63]
	;; [unrolled: 1-line block ×5, first 2 shown]
	v_add_f64 v[48:49], v[58:59], v[6:7]
	v_add_f64 v[12:13], v[12:13], v[6:7]
	;; [unrolled: 1-line block ×3, first 2 shown]
	v_fma_f64 v[54:55], v[10:11], s[2:3], v[16:17]
	v_add_f64 v[56:57], v[8:9], v[20:21]
	v_add_f64 v[8:9], v[70:71], v[20:21]
	;; [unrolled: 1-line block ×4, first 2 shown]
	v_add_f64 v[14:15], v[12:13], -v[46:47]
	v_add_f64 v[18:19], v[46:47], v[12:13]
	v_add_f64 v[46:47], v[48:49], -v[44:45]
	v_add_f64 v[44:45], v[50:51], v[56:57]
	v_add_f64 v[10:11], v[4:5], v[22:23]
	v_add_f64 v[22:23], v[22:23], -v[4:5]
	v_add_f64 v[20:21], v[54:55], v[8:9]
	v_add_f64 v[16:17], v[58:59], -v[52:53]
	;; [unrolled: 2-line block ×3, first 2 shown]
	v_add_f64 v[4:5], v[56:57], -v[50:51]
	v_mul_u32_u24_e32 v48, 56, v90
	v_or_b32_e32 v48, v48, v89
	v_lshl_add_u32 v48, v48, 4, v87
	ds_write_b128 v48, v[0:3]
	ds_write_b128 v48, v[44:47] offset:128
	ds_write_b128 v48, v[20:23] offset:256
	;; [unrolled: 1-line block ×6, first 2 shown]
.LBB0_21:
	s_or_b32 exec_lo, exec_lo, s1
	s_waitcnt lgkmcnt(0)
	s_barrier
	buffer_gl0_inv
	ds_read_b128 v[0:3], v88 offset:2688
	ds_read_b128 v[4:7], v88 offset:4480
	;; [unrolled: 1-line block ×5, first 2 shown]
	s_mov_b32 s0, 0xe8584caa
	s_mov_b32 s1, 0xbfebb67a
	s_mov_b32 s3, 0x3febb67a
	s_mov_b32 s2, s0
	s_waitcnt lgkmcnt(4)
	v_mul_f64 v[20:21], v[26:27], v[0:1]
	s_waitcnt lgkmcnt(3)
	v_mul_f64 v[22:23], v[42:43], v[4:5]
	;; [unrolled: 2-line block ×3, first 2 shown]
	v_mul_f64 v[26:27], v[26:27], v[2:3]
	v_mul_f64 v[42:43], v[42:43], v[6:7]
	v_fma_f64 v[20:21], v[24:25], v[2:3], -v[20:21]
	v_fma_f64 v[6:7], v[40:41], v[6:7], -v[22:23]
	v_mul_f64 v[2:3], v[30:31], v[10:11]
	s_waitcnt lgkmcnt(1)
	v_mul_f64 v[22:23], v[38:39], v[14:15]
	v_mul_f64 v[30:31], v[38:39], v[12:13]
	s_waitcnt lgkmcnt(0)
	v_mul_f64 v[38:39], v[34:35], v[18:19]
	v_mul_f64 v[34:35], v[34:35], v[16:17]
	v_fma_f64 v[24:25], v[24:25], v[0:1], v[26:27]
	v_fma_f64 v[4:5], v[40:41], v[4:5], v[42:43]
	v_fma_f64 v[10:11], v[28:29], v[10:11], -v[44:45]
	v_add_f64 v[0:1], v[20:21], v[6:7]
	v_fma_f64 v[8:9], v[28:29], v[8:9], v[2:3]
	v_fma_f64 v[12:13], v[36:37], v[12:13], v[22:23]
	v_fma_f64 v[14:15], v[36:37], v[14:15], -v[30:31]
	v_fma_f64 v[16:17], v[32:33], v[16:17], v[38:39]
	v_fma_f64 v[18:19], v[32:33], v[18:19], -v[34:35]
	v_add_f64 v[34:35], v[20:21], -v[6:7]
	v_add_f64 v[22:23], v[24:25], v[4:5]
	v_add_f64 v[26:27], v[24:25], -v[4:5]
	v_fma_f64 v[28:29], v[0:1], -0.5, v[10:11]
	ds_read_b128 v[0:3], v88
	v_add_f64 v[10:11], v[10:11], v[20:21]
	v_add_f64 v[30:31], v[12:13], v[16:17]
	;; [unrolled: 1-line block ×3, first 2 shown]
	v_add_f64 v[38:39], v[14:15], -v[18:19]
	v_fma_f64 v[22:23], v[22:23], -0.5, v[8:9]
	v_add_f64 v[8:9], v[8:9], v[24:25]
	s_waitcnt lgkmcnt(0)
	v_add_f64 v[14:15], v[2:3], v[14:15]
	v_fma_f64 v[36:37], v[26:27], s[2:3], v[28:29]
	v_fma_f64 v[26:27], v[26:27], s[0:1], v[28:29]
	v_add_f64 v[28:29], v[0:1], v[12:13]
	v_add_f64 v[12:13], v[12:13], -v[16:17]
	v_fma_f64 v[0:1], v[30:31], -0.5, v[0:1]
	v_fma_f64 v[2:3], v[32:33], -0.5, v[2:3]
	v_add_f64 v[6:7], v[10:11], v[6:7]
	v_fma_f64 v[20:21], v[34:35], s[0:1], v[22:23]
	v_fma_f64 v[22:23], v[34:35], s[2:3], v[22:23]
	v_add_f64 v[4:5], v[8:9], v[4:5]
	v_add_f64 v[14:15], v[14:15], v[18:19]
	v_mul_f64 v[24:25], v[36:37], s[0:1]
	v_mul_f64 v[32:33], v[36:37], 0.5
	v_mul_f64 v[30:31], v[26:27], s[0:1]
	v_mul_f64 v[26:27], v[26:27], -0.5
	v_add_f64 v[16:17], v[28:29], v[16:17]
	v_fma_f64 v[18:19], v[38:39], s[0:1], v[0:1]
	v_fma_f64 v[34:35], v[12:13], s[2:3], v[2:3]
	;; [unrolled: 1-line block ×4, first 2 shown]
	v_add_f64 v[2:3], v[14:15], v[6:7]
	v_fma_f64 v[24:25], v[20:21], 0.5, v[24:25]
	v_fma_f64 v[32:33], v[20:21], s[2:3], v[32:33]
	v_fma_f64 v[30:31], v[22:23], -0.5, v[30:31]
	v_fma_f64 v[22:23], v[22:23], s[2:3], v[26:27]
	v_add_f64 v[0:1], v[16:17], v[4:5]
	v_add_f64 v[4:5], v[16:17], -v[4:5]
	v_add_f64 v[6:7], v[14:15], -v[6:7]
	v_add_f64 v[8:9], v[18:19], v[24:25]
	v_add_f64 v[10:11], v[34:35], v[32:33]
	;; [unrolled: 1-line block ×4, first 2 shown]
	v_add_f64 v[16:17], v[18:19], -v[24:25]
	v_add_f64 v[18:19], v[34:35], -v[32:33]
	;; [unrolled: 1-line block ×4, first 2 shown]
	ds_write_b128 v77, v[0:3]
	ds_write_b128 v77, v[4:7] offset:2688
	ds_write_b128 v77, v[8:11] offset:896
	;; [unrolled: 1-line block ×5, first 2 shown]
	s_waitcnt lgkmcnt(0)
	s_barrier
	buffer_gl0_inv
	s_and_b32 exec_lo, exec_lo, vcc_lo
	s_cbranch_execz .LBB0_23
; %bb.22:
	v_add_co_u32 v20, s0, s14, v86
	v_add_co_ci_u32_e64 v21, null, s15, 0, s0
	v_mad_u64_u32 v[40:41], null, s6, v76, 0
	v_add_co_u32 v24, vcc_lo, 0x800, v20
	v_add_co_ci_u32_e32 v25, vcc_lo, 0, v21, vcc_lo
	v_add_co_u32 v28, vcc_lo, 0x1000, v20
	s_clause 0x4
	global_load_dwordx4 v[0:3], v86, s[14:15]
	global_load_dwordx4 v[4:7], v86, s[14:15] offset:672
	global_load_dwordx4 v[8:11], v86, s[14:15] offset:1344
	;; [unrolled: 1-line block ×3, first 2 shown]
	global_load_dwordx4 v[16:19], v[24:25], off offset:640
	v_add_co_ci_u32_e32 v29, vcc_lo, 0, v21, vcc_lo
	s_clause 0x2
	global_load_dwordx4 v[20:23], v[24:25], off offset:1312
	global_load_dwordx4 v[24:27], v[24:25], off offset:1984
	;; [unrolled: 1-line block ×3, first 2 shown]
	v_mad_u64_u32 v[56:57], null, s4, v85, 0
	v_mov_b32_e32 v32, v41
	s_mul_i32 s0, s5, 0x2a0
	s_mul_hi_u32 s1, s4, 0x2a0
	s_mul_i32 s2, s4, 0x2a0
	s_add_i32 s3, s1, s0
	s_mov_b32 s0, 0x18618618
	v_mov_b32_e32 v33, v57
	s_mov_b32 s1, 0x3f686186
	v_mad_u64_u32 v[41:42], null, s7, v76, v[32:33]
	v_mad_u64_u32 v[42:43], null, s5, v85, v[33:34]
	ds_read_b128 v[32:35], v77
	ds_read_b128 v[36:39], v77 offset:672
	v_lshlrev_b64 v[58:59], 4, v[40:41]
	v_mov_b32_e32 v57, v42
	ds_read_b128 v[40:43], v77 offset:1344
	ds_read_b128 v[44:47], v77 offset:2016
	ds_read_b128 v[48:51], v77 offset:2688
	ds_read_b128 v[52:55], v77 offset:3360
	v_add_co_u32 v66, vcc_lo, s12, v58
	v_lshlrev_b64 v[64:65], 4, v[56:57]
	v_add_co_ci_u32_e32 v67, vcc_lo, s13, v59, vcc_lo
	ds_read_b128 v[56:59], v77 offset:4032
	ds_read_b128 v[60:63], v77 offset:4704
	v_add_co_u32 v64, vcc_lo, v66, v64
	v_add_co_ci_u32_e32 v65, vcc_lo, v67, v65, vcc_lo
	v_add_co_u32 v66, vcc_lo, v64, s2
	v_add_co_ci_u32_e32 v67, vcc_lo, s3, v65, vcc_lo
	;; [unrolled: 2-line block ×4, first 2 shown]
	s_waitcnt vmcnt(7) lgkmcnt(7)
	v_mul_f64 v[68:69], v[34:35], v[2:3]
	v_mul_f64 v[2:3], v[32:33], v[2:3]
	s_waitcnt vmcnt(6) lgkmcnt(6)
	v_mul_f64 v[70:71], v[38:39], v[6:7]
	v_mul_f64 v[6:7], v[36:37], v[6:7]
	;; [unrolled: 3-line block ×8, first 2 shown]
	v_fma_f64 v[32:33], v[32:33], v[0:1], v[68:69]
	v_fma_f64 v[2:3], v[0:1], v[34:35], -v[2:3]
	v_fma_f64 v[34:35], v[36:37], v[4:5], v[70:71]
	v_fma_f64 v[6:7], v[4:5], v[38:39], -v[6:7]
	;; [unrolled: 2-line block ×8, first 2 shown]
	v_add_co_u32 v48, vcc_lo, v86, s2
	v_add_co_ci_u32_e32 v49, vcc_lo, s3, v87, vcc_lo
	v_mul_f64 v[0:1], v[32:33], s[0:1]
	v_mul_f64 v[2:3], v[2:3], s[0:1]
	;; [unrolled: 1-line block ×16, first 2 shown]
	v_add_co_u32 v32, vcc_lo, v48, s2
	v_add_co_ci_u32_e32 v33, vcc_lo, s3, v49, vcc_lo
	v_add_co_u32 v34, vcc_lo, v32, s2
	v_add_co_ci_u32_e32 v35, vcc_lo, s3, v33, vcc_lo
	;; [unrolled: 2-line block ×3, first 2 shown]
	global_store_dwordx4 v[64:65], v[0:3], off
	global_store_dwordx4 v[66:67], v[4:7], off
	;; [unrolled: 1-line block ×8, first 2 shown]
.LBB0_23:
	s_endpgm
	.section	.rodata,"a",@progbits
	.p2align	6, 0x0
	.amdhsa_kernel bluestein_single_fwd_len336_dim1_dp_op_CI_CI
		.amdhsa_group_segment_fixed_size 10752
		.amdhsa_private_segment_fixed_size 0
		.amdhsa_kernarg_size 104
		.amdhsa_user_sgpr_count 6
		.amdhsa_user_sgpr_private_segment_buffer 1
		.amdhsa_user_sgpr_dispatch_ptr 0
		.amdhsa_user_sgpr_queue_ptr 0
		.amdhsa_user_sgpr_kernarg_segment_ptr 1
		.amdhsa_user_sgpr_dispatch_id 0
		.amdhsa_user_sgpr_flat_scratch_init 0
		.amdhsa_user_sgpr_private_segment_size 0
		.amdhsa_wavefront_size32 1
		.amdhsa_uses_dynamic_stack 0
		.amdhsa_system_sgpr_private_segment_wavefront_offset 0
		.amdhsa_system_sgpr_workgroup_id_x 1
		.amdhsa_system_sgpr_workgroup_id_y 0
		.amdhsa_system_sgpr_workgroup_id_z 0
		.amdhsa_system_sgpr_workgroup_info 0
		.amdhsa_system_vgpr_workitem_id 0
		.amdhsa_next_free_vgpr 170
		.amdhsa_next_free_sgpr 20
		.amdhsa_reserve_vcc 1
		.amdhsa_reserve_flat_scratch 0
		.amdhsa_float_round_mode_32 0
		.amdhsa_float_round_mode_16_64 0
		.amdhsa_float_denorm_mode_32 3
		.amdhsa_float_denorm_mode_16_64 3
		.amdhsa_dx10_clamp 1
		.amdhsa_ieee_mode 1
		.amdhsa_fp16_overflow 0
		.amdhsa_workgroup_processor_mode 1
		.amdhsa_memory_ordered 1
		.amdhsa_forward_progress 0
		.amdhsa_shared_vgpr_count 0
		.amdhsa_exception_fp_ieee_invalid_op 0
		.amdhsa_exception_fp_denorm_src 0
		.amdhsa_exception_fp_ieee_div_zero 0
		.amdhsa_exception_fp_ieee_overflow 0
		.amdhsa_exception_fp_ieee_underflow 0
		.amdhsa_exception_fp_ieee_inexact 0
		.amdhsa_exception_int_div_zero 0
	.end_amdhsa_kernel
	.text
.Lfunc_end0:
	.size	bluestein_single_fwd_len336_dim1_dp_op_CI_CI, .Lfunc_end0-bluestein_single_fwd_len336_dim1_dp_op_CI_CI
                                        ; -- End function
	.section	.AMDGPU.csdata,"",@progbits
; Kernel info:
; codeLenInByte = 7720
; NumSgprs: 22
; NumVgprs: 170
; ScratchSize: 0
; MemoryBound: 0
; FloatMode: 240
; IeeeMode: 1
; LDSByteSize: 10752 bytes/workgroup (compile time only)
; SGPRBlocks: 2
; VGPRBlocks: 21
; NumSGPRsForWavesPerEU: 22
; NumVGPRsForWavesPerEU: 170
; Occupancy: 5
; WaveLimiterHint : 1
; COMPUTE_PGM_RSRC2:SCRATCH_EN: 0
; COMPUTE_PGM_RSRC2:USER_SGPR: 6
; COMPUTE_PGM_RSRC2:TRAP_HANDLER: 0
; COMPUTE_PGM_RSRC2:TGID_X_EN: 1
; COMPUTE_PGM_RSRC2:TGID_Y_EN: 0
; COMPUTE_PGM_RSRC2:TGID_Z_EN: 0
; COMPUTE_PGM_RSRC2:TIDIG_COMP_CNT: 0
	.text
	.p2alignl 6, 3214868480
	.fill 48, 4, 3214868480
	.type	__hip_cuid_9bc60f8619e0f587,@object ; @__hip_cuid_9bc60f8619e0f587
	.section	.bss,"aw",@nobits
	.globl	__hip_cuid_9bc60f8619e0f587
__hip_cuid_9bc60f8619e0f587:
	.byte	0                               ; 0x0
	.size	__hip_cuid_9bc60f8619e0f587, 1

	.ident	"AMD clang version 19.0.0git (https://github.com/RadeonOpenCompute/llvm-project roc-6.4.0 25133 c7fe45cf4b819c5991fe208aaa96edf142730f1d)"
	.section	".note.GNU-stack","",@progbits
	.addrsig
	.addrsig_sym __hip_cuid_9bc60f8619e0f587
	.amdgpu_metadata
---
amdhsa.kernels:
  - .args:
      - .actual_access:  read_only
        .address_space:  global
        .offset:         0
        .size:           8
        .value_kind:     global_buffer
      - .actual_access:  read_only
        .address_space:  global
        .offset:         8
        .size:           8
        .value_kind:     global_buffer
      - .actual_access:  read_only
        .address_space:  global
        .offset:         16
        .size:           8
        .value_kind:     global_buffer
      - .actual_access:  read_only
        .address_space:  global
        .offset:         24
        .size:           8
        .value_kind:     global_buffer
      - .actual_access:  read_only
        .address_space:  global
        .offset:         32
        .size:           8
        .value_kind:     global_buffer
      - .offset:         40
        .size:           8
        .value_kind:     by_value
      - .address_space:  global
        .offset:         48
        .size:           8
        .value_kind:     global_buffer
      - .address_space:  global
        .offset:         56
        .size:           8
        .value_kind:     global_buffer
      - .address_space:  global
        .offset:         64
        .size:           8
        .value_kind:     global_buffer
      - .address_space:  global
        .offset:         72
        .size:           8
        .value_kind:     global_buffer
      - .offset:         80
        .size:           4
        .value_kind:     by_value
      - .address_space:  global
        .offset:         88
        .size:           8
        .value_kind:     global_buffer
      - .address_space:  global
        .offset:         96
        .size:           8
        .value_kind:     global_buffer
    .group_segment_fixed_size: 10752
    .kernarg_segment_align: 8
    .kernarg_segment_size: 104
    .language:       OpenCL C
    .language_version:
      - 2
      - 0
    .max_flat_workgroup_size: 112
    .name:           bluestein_single_fwd_len336_dim1_dp_op_CI_CI
    .private_segment_fixed_size: 0
    .sgpr_count:     22
    .sgpr_spill_count: 0
    .symbol:         bluestein_single_fwd_len336_dim1_dp_op_CI_CI.kd
    .uniform_work_group_size: 1
    .uses_dynamic_stack: false
    .vgpr_count:     170
    .vgpr_spill_count: 0
    .wavefront_size: 32
    .workgroup_processor_mode: 1
amdhsa.target:   amdgcn-amd-amdhsa--gfx1030
amdhsa.version:
  - 1
  - 2
...

	.end_amdgpu_metadata
